;; amdgpu-corpus repo=ROCm/rocFFT kind=compiled arch=gfx1201 opt=O3
	.text
	.amdgcn_target "amdgcn-amd-amdhsa--gfx1201"
	.amdhsa_code_object_version 6
	.protected	fft_rtc_back_len220_factors_10_2_11_wgs_110_tpt_22_half_op_CI_CI_unitstride_sbrr_C2R_dirReg ; -- Begin function fft_rtc_back_len220_factors_10_2_11_wgs_110_tpt_22_half_op_CI_CI_unitstride_sbrr_C2R_dirReg
	.globl	fft_rtc_back_len220_factors_10_2_11_wgs_110_tpt_22_half_op_CI_CI_unitstride_sbrr_C2R_dirReg
	.p2align	8
	.type	fft_rtc_back_len220_factors_10_2_11_wgs_110_tpt_22_half_op_CI_CI_unitstride_sbrr_C2R_dirReg,@function
fft_rtc_back_len220_factors_10_2_11_wgs_110_tpt_22_half_op_CI_CI_unitstride_sbrr_C2R_dirReg: ; @fft_rtc_back_len220_factors_10_2_11_wgs_110_tpt_22_half_op_CI_CI_unitstride_sbrr_C2R_dirReg
; %bb.0:
	s_load_b128 s[8:11], s[0:1], 0x0
	v_mul_u32_u24_e32 v1, 0xba3, v0
	s_clause 0x1
	s_load_b128 s[4:7], s[0:1], 0x58
	s_load_b128 s[12:15], s[0:1], 0x18
	v_mov_b32_e32 v9, 0
	v_mov_b32_e32 v7, 0
	;; [unrolled: 1-line block ×3, first 2 shown]
	v_lshrrev_b32_e32 v1, 16, v1
	s_delay_alu instid0(VALU_DEP_1) | instskip(NEXT) | instid1(VALU_DEP_4)
	v_mad_co_u64_u32 v[3:4], null, ttmp9, 5, v[1:2]
	v_dual_mov_b32 v4, v9 :: v_dual_mov_b32 v1, v7
	s_delay_alu instid0(VALU_DEP_4) | instskip(NEXT) | instid1(VALU_DEP_2)
	v_mov_b32_e32 v2, v8
	v_dual_mov_b32 v6, v4 :: v_dual_mov_b32 v5, v3
	s_wait_kmcnt 0x0
	v_cmp_lt_u64_e64 s2, s[10:11], 2
	s_delay_alu instid0(VALU_DEP_1)
	s_and_b32 vcc_lo, exec_lo, s2
	s_cbranch_vccnz .LBB0_8
; %bb.1:
	s_load_b64 s[2:3], s[0:1], 0x10
	v_dual_mov_b32 v7, 0 :: v_dual_mov_b32 v12, v4
	v_dual_mov_b32 v8, 0 :: v_dual_mov_b32 v11, v3
	s_delay_alu instid0(VALU_DEP_2) | instskip(SKIP_2) | instid1(VALU_DEP_2)
	v_mov_b32_e32 v1, v7
	s_add_nc_u64 s[16:17], s[14:15], 8
	s_add_nc_u64 s[18:19], s[12:13], 8
	v_mov_b32_e32 v2, v8
	s_mov_b64 s[20:21], 1
	s_wait_kmcnt 0x0
	s_add_nc_u64 s[22:23], s[2:3], 8
	s_mov_b32 s3, 0
.LBB0_2:                                ; =>This Inner Loop Header: Depth=1
	s_load_b64 s[24:25], s[22:23], 0x0
                                        ; implicit-def: $vgpr5_vgpr6
	s_mov_b32 s2, exec_lo
	s_wait_kmcnt 0x0
	v_or_b32_e32 v10, s25, v12
	s_delay_alu instid0(VALU_DEP_1)
	v_cmpx_ne_u64_e32 0, v[9:10]
	s_wait_alu 0xfffe
	s_xor_b32 s26, exec_lo, s2
	s_cbranch_execz .LBB0_4
; %bb.3:                                ;   in Loop: Header=BB0_2 Depth=1
	s_cvt_f32_u32 s2, s24
	s_cvt_f32_u32 s27, s25
	s_sub_nc_u64 s[30:31], 0, s[24:25]
	s_wait_alu 0xfffe
	s_delay_alu instid0(SALU_CYCLE_1) | instskip(SKIP_1) | instid1(SALU_CYCLE_2)
	s_fmamk_f32 s2, s27, 0x4f800000, s2
	s_wait_alu 0xfffe
	v_s_rcp_f32 s2, s2
	s_delay_alu instid0(TRANS32_DEP_1) | instskip(SKIP_1) | instid1(SALU_CYCLE_2)
	s_mul_f32 s2, s2, 0x5f7ffffc
	s_wait_alu 0xfffe
	s_mul_f32 s27, s2, 0x2f800000
	s_wait_alu 0xfffe
	s_delay_alu instid0(SALU_CYCLE_2) | instskip(SKIP_1) | instid1(SALU_CYCLE_2)
	s_trunc_f32 s27, s27
	s_wait_alu 0xfffe
	s_fmamk_f32 s2, s27, 0xcf800000, s2
	s_cvt_u32_f32 s29, s27
	s_wait_alu 0xfffe
	s_delay_alu instid0(SALU_CYCLE_1) | instskip(SKIP_1) | instid1(SALU_CYCLE_2)
	s_cvt_u32_f32 s28, s2
	s_wait_alu 0xfffe
	s_mul_u64 s[34:35], s[30:31], s[28:29]
	s_wait_alu 0xfffe
	s_mul_hi_u32 s37, s28, s35
	s_mul_i32 s36, s28, s35
	s_mul_hi_u32 s2, s28, s34
	s_mul_i32 s33, s29, s34
	s_wait_alu 0xfffe
	s_add_nc_u64 s[36:37], s[2:3], s[36:37]
	s_mul_hi_u32 s27, s29, s34
	s_mul_hi_u32 s38, s29, s35
	s_add_co_u32 s2, s36, s33
	s_wait_alu 0xfffe
	s_add_co_ci_u32 s2, s37, s27
	s_mul_i32 s34, s29, s35
	s_add_co_ci_u32 s35, s38, 0
	s_wait_alu 0xfffe
	s_add_nc_u64 s[34:35], s[2:3], s[34:35]
	s_wait_alu 0xfffe
	v_add_co_u32 v4, s2, s28, s34
	s_delay_alu instid0(VALU_DEP_1) | instskip(SKIP_1) | instid1(VALU_DEP_1)
	s_cmp_lg_u32 s2, 0
	s_add_co_ci_u32 s29, s29, s35
	v_readfirstlane_b32 s28, v4
	s_wait_alu 0xfffe
	s_delay_alu instid0(VALU_DEP_1)
	s_mul_u64 s[30:31], s[30:31], s[28:29]
	s_wait_alu 0xfffe
	s_mul_hi_u32 s35, s28, s31
	s_mul_i32 s34, s28, s31
	s_mul_hi_u32 s2, s28, s30
	s_mul_i32 s33, s29, s30
	s_wait_alu 0xfffe
	s_add_nc_u64 s[34:35], s[2:3], s[34:35]
	s_mul_hi_u32 s27, s29, s30
	s_mul_hi_u32 s28, s29, s31
	s_wait_alu 0xfffe
	s_add_co_u32 s2, s34, s33
	s_add_co_ci_u32 s2, s35, s27
	s_mul_i32 s30, s29, s31
	s_add_co_ci_u32 s31, s28, 0
	s_wait_alu 0xfffe
	s_add_nc_u64 s[30:31], s[2:3], s[30:31]
	s_wait_alu 0xfffe
	v_add_co_u32 v6, s2, v4, s30
	s_delay_alu instid0(VALU_DEP_1) | instskip(SKIP_1) | instid1(VALU_DEP_1)
	s_cmp_lg_u32 s2, 0
	s_add_co_ci_u32 s2, s29, s31
	v_mul_hi_u32 v10, v11, v6
	s_wait_alu 0xfffe
	v_mad_co_u64_u32 v[4:5], null, v11, s2, 0
	v_mad_co_u64_u32 v[13:14], null, v12, v6, 0
	;; [unrolled: 1-line block ×3, first 2 shown]
	s_delay_alu instid0(VALU_DEP_3) | instskip(SKIP_1) | instid1(VALU_DEP_4)
	v_add_co_u32 v4, vcc_lo, v10, v4
	s_wait_alu 0xfffd
	v_add_co_ci_u32_e32 v5, vcc_lo, 0, v5, vcc_lo
	s_delay_alu instid0(VALU_DEP_2) | instskip(SKIP_1) | instid1(VALU_DEP_2)
	v_add_co_u32 v4, vcc_lo, v4, v13
	s_wait_alu 0xfffd
	v_add_co_ci_u32_e32 v4, vcc_lo, v5, v14, vcc_lo
	s_wait_alu 0xfffd
	v_add_co_ci_u32_e32 v5, vcc_lo, 0, v16, vcc_lo
	s_delay_alu instid0(VALU_DEP_2) | instskip(SKIP_1) | instid1(VALU_DEP_2)
	v_add_co_u32 v10, vcc_lo, v4, v15
	s_wait_alu 0xfffd
	v_add_co_ci_u32_e32 v6, vcc_lo, 0, v5, vcc_lo
	s_delay_alu instid0(VALU_DEP_2) | instskip(SKIP_1) | instid1(VALU_DEP_3)
	v_mul_lo_u32 v13, s25, v10
	v_mad_co_u64_u32 v[4:5], null, s24, v10, 0
	v_mul_lo_u32 v14, s24, v6
	s_delay_alu instid0(VALU_DEP_2) | instskip(NEXT) | instid1(VALU_DEP_2)
	v_sub_co_u32 v4, vcc_lo, v11, v4
	v_add3_u32 v5, v5, v14, v13
	s_delay_alu instid0(VALU_DEP_1) | instskip(SKIP_1) | instid1(VALU_DEP_1)
	v_sub_nc_u32_e32 v13, v12, v5
	s_wait_alu 0xfffd
	v_subrev_co_ci_u32_e64 v13, s2, s25, v13, vcc_lo
	v_add_co_u32 v14, s2, v10, 2
	s_wait_alu 0xf1ff
	v_add_co_ci_u32_e64 v15, s2, 0, v6, s2
	v_sub_co_u32 v16, s2, v4, s24
	v_sub_co_ci_u32_e32 v5, vcc_lo, v12, v5, vcc_lo
	s_wait_alu 0xf1ff
	v_subrev_co_ci_u32_e64 v13, s2, 0, v13, s2
	s_delay_alu instid0(VALU_DEP_3) | instskip(NEXT) | instid1(VALU_DEP_3)
	v_cmp_le_u32_e32 vcc_lo, s24, v16
	v_cmp_eq_u32_e64 s2, s25, v5
	s_wait_alu 0xfffd
	v_cndmask_b32_e64 v16, 0, -1, vcc_lo
	v_cmp_le_u32_e32 vcc_lo, s25, v13
	s_wait_alu 0xfffd
	v_cndmask_b32_e64 v17, 0, -1, vcc_lo
	v_cmp_le_u32_e32 vcc_lo, s24, v4
	;; [unrolled: 3-line block ×3, first 2 shown]
	s_wait_alu 0xfffd
	v_cndmask_b32_e64 v18, 0, -1, vcc_lo
	v_cmp_eq_u32_e32 vcc_lo, s25, v13
	s_wait_alu 0xf1ff
	s_delay_alu instid0(VALU_DEP_2)
	v_cndmask_b32_e64 v4, v18, v4, s2
	s_wait_alu 0xfffd
	v_cndmask_b32_e32 v13, v17, v16, vcc_lo
	v_add_co_u32 v16, vcc_lo, v10, 1
	s_wait_alu 0xfffd
	v_add_co_ci_u32_e32 v17, vcc_lo, 0, v6, vcc_lo
	s_delay_alu instid0(VALU_DEP_3) | instskip(SKIP_1) | instid1(VALU_DEP_2)
	v_cmp_ne_u32_e32 vcc_lo, 0, v13
	s_wait_alu 0xfffd
	v_cndmask_b32_e32 v5, v17, v15, vcc_lo
	v_cndmask_b32_e32 v13, v16, v14, vcc_lo
	v_cmp_ne_u32_e32 vcc_lo, 0, v4
	s_wait_alu 0xfffd
	s_delay_alu instid0(VALU_DEP_3) | instskip(NEXT) | instid1(VALU_DEP_3)
	v_cndmask_b32_e32 v6, v6, v5, vcc_lo
	v_cndmask_b32_e32 v5, v10, v13, vcc_lo
.LBB0_4:                                ;   in Loop: Header=BB0_2 Depth=1
	s_wait_alu 0xfffe
	s_and_not1_saveexec_b32 s2, s26
	s_cbranch_execz .LBB0_6
; %bb.5:                                ;   in Loop: Header=BB0_2 Depth=1
	v_cvt_f32_u32_e32 v4, s24
	s_sub_co_i32 s26, 0, s24
	s_delay_alu instid0(VALU_DEP_1) | instskip(NEXT) | instid1(TRANS32_DEP_1)
	v_rcp_iflag_f32_e32 v4, v4
	v_mul_f32_e32 v4, 0x4f7ffffe, v4
	s_delay_alu instid0(VALU_DEP_1) | instskip(SKIP_1) | instid1(VALU_DEP_1)
	v_cvt_u32_f32_e32 v4, v4
	s_wait_alu 0xfffe
	v_mul_lo_u32 v5, s26, v4
	s_delay_alu instid0(VALU_DEP_1) | instskip(NEXT) | instid1(VALU_DEP_1)
	v_mul_hi_u32 v5, v4, v5
	v_add_nc_u32_e32 v4, v4, v5
	s_delay_alu instid0(VALU_DEP_1) | instskip(NEXT) | instid1(VALU_DEP_1)
	v_mul_hi_u32 v4, v11, v4
	v_mul_lo_u32 v5, v4, s24
	v_add_nc_u32_e32 v6, 1, v4
	s_delay_alu instid0(VALU_DEP_2) | instskip(NEXT) | instid1(VALU_DEP_1)
	v_sub_nc_u32_e32 v5, v11, v5
	v_subrev_nc_u32_e32 v10, s24, v5
	v_cmp_le_u32_e32 vcc_lo, s24, v5
	s_wait_alu 0xfffd
	s_delay_alu instid0(VALU_DEP_2) | instskip(SKIP_1) | instid1(VALU_DEP_2)
	v_cndmask_b32_e32 v5, v5, v10, vcc_lo
	v_cndmask_b32_e32 v4, v4, v6, vcc_lo
	v_cmp_le_u32_e32 vcc_lo, s24, v5
	s_delay_alu instid0(VALU_DEP_2) | instskip(SKIP_1) | instid1(VALU_DEP_1)
	v_add_nc_u32_e32 v6, 1, v4
	s_wait_alu 0xfffd
	v_dual_cndmask_b32 v5, v4, v6 :: v_dual_mov_b32 v6, v9
.LBB0_6:                                ;   in Loop: Header=BB0_2 Depth=1
	s_wait_alu 0xfffe
	s_or_b32 exec_lo, exec_lo, s2
	s_delay_alu instid0(VALU_DEP_1) | instskip(NEXT) | instid1(VALU_DEP_2)
	v_mul_lo_u32 v4, v6, s24
	v_mul_lo_u32 v10, v5, s25
	s_load_b64 s[26:27], s[18:19], 0x0
	v_mad_co_u64_u32 v[13:14], null, v5, s24, 0
	s_load_b64 s[24:25], s[16:17], 0x0
	s_add_nc_u64 s[20:21], s[20:21], 1
	s_add_nc_u64 s[16:17], s[16:17], 8
	s_wait_alu 0xfffe
	v_cmp_ge_u64_e64 s2, s[20:21], s[10:11]
	s_add_nc_u64 s[18:19], s[18:19], 8
	s_add_nc_u64 s[22:23], s[22:23], 8
	v_add3_u32 v4, v14, v10, v4
	v_sub_co_u32 v10, vcc_lo, v11, v13
	s_wait_alu 0xfffd
	s_delay_alu instid0(VALU_DEP_2) | instskip(SKIP_2) | instid1(VALU_DEP_1)
	v_sub_co_ci_u32_e32 v4, vcc_lo, v12, v4, vcc_lo
	s_and_b32 vcc_lo, exec_lo, s2
	s_wait_kmcnt 0x0
	v_mul_lo_u32 v11, s26, v4
	v_mul_lo_u32 v12, s27, v10
	v_mad_co_u64_u32 v[7:8], null, s26, v10, v[7:8]
	v_mul_lo_u32 v4, s24, v4
	v_mul_lo_u32 v13, s25, v10
	v_mad_co_u64_u32 v[1:2], null, s24, v10, v[1:2]
	s_delay_alu instid0(VALU_DEP_4) | instskip(NEXT) | instid1(VALU_DEP_2)
	v_add3_u32 v8, v12, v8, v11
	v_add3_u32 v2, v13, v2, v4
	s_wait_alu 0xfffe
	s_cbranch_vccnz .LBB0_8
; %bb.7:                                ;   in Loop: Header=BB0_2 Depth=1
	v_dual_mov_b32 v12, v6 :: v_dual_mov_b32 v11, v5
	s_branch .LBB0_2
.LBB0_8:
	s_load_b64 s[0:1], s[0:1], 0x28
	v_mul_hi_u32 v4, 0xcccccccd, v3
	v_mul_hi_u32 v10, 0xba2e8bb, v0
	s_lshl_b64 s[10:11], s[10:11], 3
	s_wait_alu 0xfffe
	s_add_nc_u64 s[2:3], s[14:15], s[10:11]
	s_delay_alu instid0(VALU_DEP_2) | instskip(NEXT) | instid1(VALU_DEP_1)
	v_lshrrev_b32_e32 v4, 2, v4
	v_lshl_add_u32 v4, v4, 2, v4
	s_delay_alu instid0(VALU_DEP_1) | instskip(SKIP_3) | instid1(VALU_DEP_1)
	v_sub_nc_u32_e32 v4, v3, v4
	s_wait_kmcnt 0x0
	v_cmp_gt_u64_e32 vcc_lo, s[0:1], v[5:6]
	v_cmp_le_u64_e64 s0, s[0:1], v[5:6]
                                        ; implicit-def: $vgpr3
	s_and_saveexec_b32 s1, s0
	s_wait_alu 0xfffe
	s_xor_b32 s0, exec_lo, s1
; %bb.9:
	v_mul_u32_u24_e32 v3, 22, v10
                                        ; implicit-def: $vgpr10
                                        ; implicit-def: $vgpr7_vgpr8
	s_delay_alu instid0(VALU_DEP_1)
	v_sub_nc_u32_e32 v3, v0, v3
                                        ; implicit-def: $vgpr0
; %bb.10:
	s_wait_alu 0xfffe
	s_or_saveexec_b32 s1, s0
	s_load_b64 s[2:3], s[2:3], 0x0
	v_mul_u32_u24_e32 v4, 0xdd, v4
	s_delay_alu instid0(VALU_DEP_1)
	v_lshlrev_b32_e32 v9, 2, v4
	s_xor_b32 exec_lo, exec_lo, s1
	s_cbranch_execz .LBB0_14
; %bb.11:
	s_add_nc_u64 s[10:11], s[12:13], s[10:11]
	v_lshlrev_b64_e32 v[7:8], 2, v[7:8]
	s_load_b64 s[10:11], s[10:11], 0x0
	s_wait_kmcnt 0x0
	v_mul_lo_u32 v3, s11, v5
	v_mul_lo_u32 v13, s10, v6
	v_mad_co_u64_u32 v[11:12], null, s10, v5, 0
	s_delay_alu instid0(VALU_DEP_1) | instskip(SKIP_1) | instid1(VALU_DEP_2)
	v_add3_u32 v12, v12, v13, v3
	v_mul_u32_u24_e32 v3, 22, v10
	v_lshlrev_b64_e32 v[10:11], 2, v[11:12]
	s_delay_alu instid0(VALU_DEP_2) | instskip(NEXT) | instid1(VALU_DEP_1)
	v_sub_nc_u32_e32 v3, v0, v3
	v_lshlrev_b32_e32 v12, 2, v3
	s_delay_alu instid0(VALU_DEP_3) | instskip(SKIP_1) | instid1(VALU_DEP_4)
	v_add_co_u32 v0, s0, s4, v10
	s_wait_alu 0xf1ff
	v_add_co_ci_u32_e64 v10, s0, s5, v11, s0
	s_mov_b32 s4, exec_lo
	s_delay_alu instid0(VALU_DEP_2) | instskip(SKIP_1) | instid1(VALU_DEP_2)
	v_add_co_u32 v7, s0, v0, v7
	s_wait_alu 0xf1ff
	v_add_co_ci_u32_e64 v8, s0, v10, v8, s0
	v_add3_u32 v0, 0, v9, v12
	s_delay_alu instid0(VALU_DEP_3) | instskip(SKIP_1) | instid1(VALU_DEP_3)
	v_add_co_u32 v10, s0, v7, v12
	s_wait_alu 0xf1ff
	v_add_co_ci_u32_e64 v11, s0, 0, v8, s0
	s_clause 0x9
	global_load_b32 v13, v[10:11], off
	global_load_b32 v14, v[10:11], off offset:88
	global_load_b32 v15, v[10:11], off offset:176
	;; [unrolled: 1-line block ×9, first 2 shown]
	s_wait_loadcnt 0x8
	ds_store_2addr_b32 v0, v13, v14 offset1:22
	s_wait_loadcnt 0x6
	ds_store_2addr_b32 v0, v15, v16 offset0:44 offset1:66
	s_wait_loadcnt 0x4
	ds_store_2addr_b32 v0, v17, v18 offset0:88 offset1:110
	;; [unrolled: 2-line block ×4, first 2 shown]
	v_cmpx_eq_u32_e32 21, v3
	s_cbranch_execz .LBB0_13
; %bb.12:
	global_load_b32 v7, v[7:8], off offset:880
	v_mov_b32_e32 v3, 21
	s_wait_loadcnt 0x0
	ds_store_b32 v0, v7 offset:796
.LBB0_13:
	s_wait_alu 0xfffe
	s_or_b32 exec_lo, exec_lo, s4
.LBB0_14:
	s_delay_alu instid0(SALU_CYCLE_1)
	s_or_b32 exec_lo, exec_lo, s1
	v_lshl_add_u32 v0, v4, 2, 0
	v_lshlrev_b32_e32 v11, 2, v3
	global_wb scope:SCOPE_SE
	s_wait_dscnt 0x0
	s_wait_kmcnt 0x0
	s_barrier_signal -1
	s_barrier_wait -1
	global_inv scope:SCOPE_SE
	v_add_nc_u32_e32 v17, v0, v11
	v_sub_nc_u32_e32 v10, v0, v11
	s_mov_b32 s1, exec_lo
                                        ; implicit-def: $vgpr7_vgpr8
	ds_load_u16 v14, v17
	ds_load_u16 v15, v10 offset:880
	s_wait_dscnt 0x0
	v_add_f16_e32 v13, v15, v14
	v_sub_f16_e32 v12, v14, v15
	v_cmpx_ne_u32_e32 0, v3
	s_wait_alu 0xfffe
	s_xor_b32 s1, exec_lo, s1
	s_cbranch_execz .LBB0_16
; %bb.15:
	v_mov_b32_e32 v4, 0
	v_add_f16_e32 v13, v15, v14
	v_sub_f16_e32 v14, v14, v15
	s_delay_alu instid0(VALU_DEP_3) | instskip(NEXT) | instid1(VALU_DEP_1)
	v_lshlrev_b64_e32 v[7:8], 2, v[3:4]
	v_add_co_u32 v7, s0, s8, v7
	s_wait_alu 0xf1ff
	s_delay_alu instid0(VALU_DEP_2)
	v_add_co_ci_u32_e64 v8, s0, s9, v8, s0
	global_load_b32 v7, v[7:8], off offset:840
	ds_load_u16 v8, v10 offset:882
	ds_load_u16 v12, v17 offset:2
	s_wait_dscnt 0x0
	v_add_f16_e32 v15, v8, v12
	v_sub_f16_e32 v8, v12, v8
	s_wait_loadcnt 0x0
	v_lshrrev_b32_e32 v16, 16, v7
	s_delay_alu instid0(VALU_DEP_1) | instskip(NEXT) | instid1(VALU_DEP_3)
	v_fma_f16 v18, -v14, v16, v13
	v_fma_f16 v19, v15, v16, -v8
	v_fma_f16 v12, v15, v16, v8
	v_fma_f16 v13, v14, v16, v13
	s_delay_alu instid0(VALU_DEP_4) | instskip(NEXT) | instid1(VALU_DEP_4)
	v_fmac_f16_e32 v18, v7, v15
	v_fmac_f16_e32 v19, v14, v7
	s_delay_alu instid0(VALU_DEP_4) | instskip(NEXT) | instid1(VALU_DEP_4)
	v_fmac_f16_e32 v12, v14, v7
	v_fma_f16 v13, -v7, v15, v13
	v_dual_mov_b32 v8, v4 :: v_dual_mov_b32 v7, v3
	s_delay_alu instid0(VALU_DEP_4)
	v_pack_b32_f16 v14, v18, v19
	ds_store_b32 v10, v14 offset:880
.LBB0_16:
	s_wait_alu 0xfffe
	s_and_not1_saveexec_b32 s0, s1
	s_cbranch_execz .LBB0_18
; %bb.17:
	ds_load_b32 v4, v0 offset:440
	v_mov_b32_e32 v7, 0
	v_mov_b32_e32 v8, 0
	s_wait_dscnt 0x0
	v_pk_mul_f16 v4, 0xc0004000, v4
	ds_store_b32 v0, v4 offset:440
.LBB0_18:
	s_wait_alu 0xfffe
	s_or_b32 exec_lo, exec_lo, s0
	v_lshlrev_b64_e32 v[7:8], 2, v[7:8]
	s_add_nc_u64 s[0:1], s[8:9], 0x348
	s_wait_alu 0xfffe
	s_delay_alu instid0(VALU_DEP_1) | instskip(SKIP_1) | instid1(VALU_DEP_2)
	v_add_co_u32 v7, s0, s0, v7
	s_wait_alu 0xf1ff
	v_add_co_ci_u32_e64 v8, s0, s1, v8, s0
	v_cmp_gt_u32_e64 s0, 20, v3
	s_clause 0x3
	global_load_b32 v4, v[7:8], off offset:88
	global_load_b32 v14, v[7:8], off offset:176
	;; [unrolled: 1-line block ×4, first 2 shown]
	v_perm_b32 v8, v12, v13, 0x5040100
	ds_store_b32 v17, v8
	ds_load_b32 v8, v17 offset:88
	ds_load_b32 v12, v10 offset:792
	s_wait_dscnt 0x1
	v_lshrrev_b32_e32 v13, 16, v8
	s_wait_dscnt 0x0
	v_lshrrev_b32_e32 v16, 16, v12
	v_add_f16_e32 v18, v8, v12
	v_sub_f16_e32 v8, v8, v12
	s_delay_alu instid0(VALU_DEP_3)
	v_add_f16_e32 v12, v16, v13
	v_sub_f16_e32 v13, v13, v16
	s_wait_loadcnt 0x3
	v_lshrrev_b32_e32 v19, 16, v4
	s_wait_loadcnt 0x0
	v_lshrrev_b32_e32 v26, 16, v7
	s_delay_alu instid0(VALU_DEP_2) | instskip(SKIP_3) | instid1(VALU_DEP_4)
	v_fma_f16 v16, v8, v19, v18
	v_fma_f16 v20, v12, v19, v13
	v_fma_f16 v18, -v8, v19, v18
	v_fma_f16 v13, v12, v19, -v13
	v_fma_f16 v16, -v4, v12, v16
	s_delay_alu instid0(VALU_DEP_4) | instskip(NEXT) | instid1(VALU_DEP_4)
	v_fmac_f16_e32 v20, v8, v4
	v_fmac_f16_e32 v18, v4, v12
	s_delay_alu instid0(VALU_DEP_4) | instskip(NEXT) | instid1(VALU_DEP_3)
	v_fmac_f16_e32 v13, v8, v4
	v_pack_b32_f16 v4, v16, v20
	v_lshrrev_b32_e32 v16, 16, v14
	s_delay_alu instid0(VALU_DEP_3)
	v_pack_b32_f16 v8, v18, v13
	ds_store_b32 v17, v4 offset:88
	ds_store_b32 v10, v8 offset:792
	ds_load_b32 v4, v17 offset:176
	ds_load_b32 v8, v10 offset:704
	s_wait_dscnt 0x1
	v_lshrrev_b32_e32 v12, 16, v4
	s_wait_dscnt 0x0
	v_lshrrev_b32_e32 v13, 16, v8
	v_add_f16_e32 v18, v4, v8
	v_sub_f16_e32 v4, v4, v8
	s_delay_alu instid0(VALU_DEP_3) | instskip(SKIP_1) | instid1(VALU_DEP_3)
	v_add_f16_e32 v8, v13, v12
	v_sub_f16_e32 v12, v12, v13
	v_fma_f16 v13, v4, v16, v18
	v_fma_f16 v18, -v4, v16, v18
	s_delay_alu instid0(VALU_DEP_3) | instskip(SKIP_1) | instid1(VALU_DEP_4)
	v_fma_f16 v19, v8, v16, v12
	v_fma_f16 v12, v8, v16, -v12
	v_fma_f16 v13, -v14, v8, v13
	s_delay_alu instid0(VALU_DEP_4) | instskip(NEXT) | instid1(VALU_DEP_4)
	v_fmac_f16_e32 v18, v14, v8
	v_fmac_f16_e32 v19, v4, v14
	s_delay_alu instid0(VALU_DEP_4) | instskip(SKIP_1) | instid1(VALU_DEP_3)
	v_fmac_f16_e32 v12, v4, v14
	v_lshrrev_b32_e32 v14, 16, v15
	v_pack_b32_f16 v4, v13, v19
	s_delay_alu instid0(VALU_DEP_3)
	v_pack_b32_f16 v8, v18, v12
	ds_store_b32 v17, v4 offset:176
	ds_store_b32 v10, v8 offset:704
	ds_load_b32 v4, v17 offset:264
	ds_load_b32 v8, v10 offset:616
	s_wait_dscnt 0x1
	v_lshrrev_b32_e32 v12, 16, v4
	s_wait_dscnt 0x0
	v_lshrrev_b32_e32 v13, 16, v8
	v_add_f16_e32 v16, v4, v8
	v_sub_f16_e32 v4, v4, v8
	s_delay_alu instid0(VALU_DEP_3) | instskip(SKIP_1) | instid1(VALU_DEP_3)
	v_add_f16_e32 v8, v13, v12
	v_sub_f16_e32 v12, v12, v13
	v_fma_f16 v13, v4, v14, v16
	v_fma_f16 v16, -v4, v14, v16
	s_delay_alu instid0(VALU_DEP_3) | instskip(SKIP_1) | instid1(VALU_DEP_4)
	v_fma_f16 v18, v8, v14, v12
	v_fma_f16 v12, v8, v14, -v12
	v_fma_f16 v13, -v15, v8, v13
	s_delay_alu instid0(VALU_DEP_4)
	v_fmac_f16_e32 v16, v15, v8
	v_add_nc_u16 v14, v3, 44
	v_fmac_f16_e32 v18, v4, v15
	v_fmac_f16_e32 v12, v4, v15
	v_add3_u32 v4, 0, v11, v9
	v_and_b32_e32 v11, 0xff, v3
	v_add_nc_u16 v15, v3, 0x42
	v_pack_b32_f16 v8, v13, v18
	v_pack_b32_f16 v12, v16, v12
	ds_store_b32 v17, v8 offset:264
	ds_store_b32 v10, v12 offset:616
	ds_load_b32 v8, v17 offset:352
	ds_load_b32 v12, v10 offset:528
	v_add_nc_u16 v13, v3, 22
	v_mul_lo_u16 v11, 0xcd, v11
	v_add_nc_u16 v16, v3, 0x58
	v_and_b32_e32 v20, 0xff, v14
	v_and_b32_e32 v21, 0xff, v15
	v_and_b32_e32 v19, 0xff, v13
	v_lshrrev_b16 v23, 11, v11
	v_and_b32_e32 v22, 0xff, v16
	v_mad_u32_u24 v18, v3, 36, v4
	s_delay_alu instid0(VALU_DEP_4)
	v_mul_lo_u16 v11, 0xcd, v19
	v_mul_lo_u16 v19, 0xcd, v20
	;; [unrolled: 1-line block ×5, first 2 shown]
	v_lshrrev_b16 v24, 11, v11
	v_lshrrev_b16 v19, 11, v19
	;; [unrolled: 1-line block ×3, first 2 shown]
	s_wait_dscnt 0x1
	v_lshrrev_b32_e32 v11, 16, v8
	s_wait_dscnt 0x0
	v_lshrrev_b32_e32 v25, 16, v12
	v_add_f16_e32 v27, v8, v12
	v_sub_f16_e32 v8, v8, v12
	v_lshrrev_b16 v21, 11, v21
	v_sub_nc_u16 v22, v3, v22
	v_add_f16_e32 v12, v25, v11
	v_sub_f16_e32 v11, v11, v25
	v_fma_f16 v25, v8, v26, v27
	v_fma_f16 v27, -v8, v26, v27
	v_mul_lo_u16 v29, v21, 10
	v_and_b32_e32 v22, 0xff, v22
	v_fma_f16 v28, v12, v26, v11
	v_fma_f16 v11, v12, v26, -v11
	v_fma_f16 v25, -v7, v12, v25
	v_fmac_f16_e32 v27, v7, v12
	v_mul_lo_u16 v26, v24, 10
	v_fmac_f16_e32 v28, v8, v7
	v_fmac_f16_e32 v11, v8, v7
	v_mul_lo_u16 v7, v19, 10
	v_mul_lo_u16 v8, v20, 10
	v_sub_nc_u16 v16, v16, v29
	v_pack_b32_f16 v12, v25, v28
	v_pack_b32_f16 v11, v27, v11
	v_sub_nc_u16 v25, v13, v26
	v_sub_nc_u16 v26, v14, v7
	v_sub_nc_u16 v27, v15, v8
	ds_store_b32 v17, v12 offset:352
	ds_store_b32 v10, v11 offset:528
	global_wb scope:SCOPE_SE
	s_wait_dscnt 0x0
	s_barrier_signal -1
	s_barrier_wait -1
	global_inv scope:SCOPE_SE
	global_wb scope:SCOPE_SE
	s_barrier_signal -1
	s_barrier_wait -1
	global_inv scope:SCOPE_SE
	ds_load_2addr_b32 v[7:8], v4 offset0:66 offset1:88
	ds_load_2addr_b32 v[10:11], v4 offset0:110 offset1:132
	;; [unrolled: 1-line block ×4, first 2 shown]
	ds_load_b32 v28, v17
	ds_load_b32 v29, v4 offset:792
	v_and_b32_e32 v16, 0xff, v16
	v_and_b32_e32 v27, 0xff, v27
	;; [unrolled: 1-line block ×4, first 2 shown]
	v_lshlrev_b32_e32 v22, 2, v22
	v_lshlrev_b32_e32 v16, 2, v16
	;; [unrolled: 1-line block ×5, first 2 shown]
	global_wb scope:SCOPE_SE
	s_wait_dscnt 0x0
	s_barrier_signal -1
	s_barrier_wait -1
	global_inv scope:SCOPE_SE
	v_and_b32_e32 v19, 0xffff, v19
	v_lshrrev_b32_e32 v33, 16, v8
	v_add_f16_e32 v30, v8, v11
	v_lshrrev_b32_e32 v31, 16, v13
	v_lshrrev_b32_e32 v32, 16, v15
	;; [unrolled: 1-line block ×3, first 2 shown]
	v_sub_f16_e32 v35, v15, v11
	v_sub_f16_e32 v36, v13, v8
	v_add_f16_e32 v37, v13, v15
	v_sub_f16_e32 v38, v11, v15
	v_sub_f16_e32 v39, v8, v13
	v_pk_add_f16 v40, v28, v13
	v_add_f16_e32 v43, v10, v14
	v_lshrrev_b32_e32 v46, 16, v10
	v_lshrrev_b32_e32 v47, 16, v14
	v_add_f16_e32 v50, v7, v29
	v_pk_add_f16 v53, v12, v7
	v_lshrrev_b32_e32 v44, 16, v7
	v_lshrrev_b32_e32 v45, 16, v29
	v_lshrrev_b32_e32 v41, 16, v28
	v_sub_f16_e32 v42, v8, v11
	v_sub_f16_e32 v49, v7, v10
	v_sub_f16_e32 v52, v10, v7
	v_lshrrev_b32_e32 v54, 16, v12
	v_sub_f16_e32 v55, v10, v14
	v_fma_f16 v30, -0.5, v30, v28
	v_sub_f16_e32 v56, v31, v32
	v_sub_f16_e32 v57, v33, v34
	v_add_f16_e32 v35, v36, v35
	v_fma_f16 v28, -0.5, v37, v28
	v_add_f16_e32 v36, v39, v38
	v_pk_add_f16 v8, v40, v8
	v_add_f16_e32 v37, v33, v34
	v_sub_f16_e32 v38, v31, v33
	v_add_f16_e32 v40, v31, v32
	v_sub_f16_e32 v31, v33, v31
	v_fma_f16 v33, -0.5, v43, v12
	v_fma_f16 v12, -0.5, v50, v12
	v_pk_add_f16 v10, v53, v10
	v_add_f16_e32 v50, v46, v47
	v_sub_f16_e32 v39, v32, v34
	v_sub_f16_e32 v32, v34, v32
	v_sub_f16_e32 v34, v44, v45
	v_sub_f16_e32 v43, v46, v47
	v_add_f16_e32 v53, v44, v45
	v_sub_f16_e32 v48, v29, v14
	v_sub_f16_e32 v51, v14, v29
	;; [unrolled: 1-line block ×3, first 2 shown]
	v_pk_add_f16 v10, v10, v14
	v_fma_f16 v14, -0.5, v50, v54
	v_pk_add_f16 v8, v8, v11
	v_fma_f16 v11, -0.5, v37, v41
	v_add_f16_e32 v37, v38, v39
	v_add_f16_e32 v31, v31, v32
	v_fmamk_f16 v32, v34, 0xbb9c, v33
	v_fmamk_f16 v38, v43, 0x3b9c, v12
	v_fmac_f16_e32 v12, 0xbb9c, v43
	v_fmac_f16_e32 v54, -0.5, v53
	v_add_f16_e32 v48, v49, v48
	v_add_f16_e32 v49, v52, v51
	v_sub_f16_e32 v51, v44, v46
	v_sub_f16_e32 v52, v45, v47
	v_pk_add_f16 v10, v10, v29
	v_fmamk_f16 v29, v7, 0x3b9c, v14
	v_sub_f16_e32 v44, v46, v44
	v_sub_f16_e32 v45, v47, v45
	v_fmac_f16_e32 v41, -0.5, v40
	v_fmac_f16_e32 v33, 0x3b9c, v34
	v_fmac_f16_e32 v32, 0xb8b4, v43
	;; [unrolled: 1-line block ×4, first 2 shown]
	v_fmamk_f16 v34, v55, 0xbb9c, v54
	v_fmac_f16_e32 v54, 0x3b9c, v55
	v_fmac_f16_e32 v14, 0xbb9c, v7
	v_sub_f16_e32 v13, v13, v15
	v_add_f16_e32 v39, v51, v52
	v_fmac_f16_e32 v29, 0x38b4, v55
	v_fmamk_f16 v46, v56, 0xbb9c, v30
	v_fmac_f16_e32 v30, 0x3b9c, v56
	v_add_f16_e32 v40, v44, v45
	v_pk_add_f16 v8, v8, v15
	v_fmamk_f16 v44, v42, 0xbb9c, v41
	v_fmac_f16_e32 v41, 0x3b9c, v42
	v_fmac_f16_e32 v32, 0x34f2, v48
	;; [unrolled: 1-line block ×4, first 2 shown]
	v_fmamk_f16 v47, v57, 0x3b9c, v28
	v_fmac_f16_e32 v28, 0xbb9c, v57
	v_fmac_f16_e32 v14, 0xb8b4, v55
	v_fmamk_f16 v15, v13, 0x3b9c, v11
	v_fmac_f16_e32 v29, 0x34f2, v39
	v_fmac_f16_e32 v46, 0xb8b4, v57
	;; [unrolled: 1-line block ×5, first 2 shown]
	v_pk_add_f16 v7, v8, v10
	v_pk_add_f16 v8, v8, v10 neg_lo:[0,1] neg_hi:[0,1]
	v_fmac_f16_e32 v34, 0x34f2, v40
	v_fmac_f16_e32 v54, 0x34f2, v40
	v_mul_f16_e32 v10, 0x38b4, v32
	v_fmac_f16_e32 v47, 0xb8b4, v56
	v_fmac_f16_e32 v28, 0x38b4, v56
	;; [unrolled: 1-line block ×6, first 2 shown]
	v_mul_f16_e32 v13, 0xb8b4, v29
	v_fmac_f16_e32 v46, 0x34f2, v35
	v_fmac_f16_e32 v30, 0x34f2, v35
	;; [unrolled: 1-line block ×6, first 2 shown]
	v_mul_f16_e32 v31, 0xbb9c, v34
	v_mul_f16_e32 v35, 0xbb9c, v54
	v_fmac_f16_e32 v10, 0x3a79, v29
	v_mul_f16_e32 v29, 0x34f2, v34
	v_mul_f16_e32 v34, 0xb4f2, v54
	v_fmac_f16_e32 v47, 0x34f2, v36
	v_fmac_f16_e32 v28, 0x34f2, v36
	;; [unrolled: 1-line block ×4, first 2 shown]
	v_mul_f16_e32 v36, 0xb8b4, v14
	v_mul_f16_e32 v14, 0xba79, v14
	v_fmac_f16_e32 v15, 0x34f2, v37
	v_fmac_f16_e32 v13, 0x3a79, v32
	;; [unrolled: 1-line block ×9, first 2 shown]
	v_add_f16_e32 v32, v15, v10
	v_add_f16_e32 v12, v46, v13
	v_sub_f16_e32 v10, v15, v10
	v_add_f16_e32 v15, v47, v31
	v_add_f16_e32 v33, v28, v35
	;; [unrolled: 1-line block ×6, first 2 shown]
	v_sub_f16_e32 v13, v46, v13
	v_sub_f16_e32 v31, v47, v31
	;; [unrolled: 1-line block ×7, first 2 shown]
	v_pack_b32_f16 v12, v12, v32
	v_pack_b32_f16 v14, v33, v39
	;; [unrolled: 1-line block ×8, first 2 shown]
	ds_store_2addr_b32 v18, v7, v12 offset1:1
	ds_store_2addr_b32 v18, v15, v14 offset0:2 offset1:3
	ds_store_2addr_b32 v18, v32, v8 offset0:4 offset1:5
	;; [unrolled: 1-line block ×4, first 2 shown]
	global_wb scope:SCOPE_SE
	s_wait_dscnt 0x0
	s_barrier_signal -1
	s_barrier_wait -1
	global_inv scope:SCOPE_SE
	s_clause 0x4
	global_load_b32 v12, v16, s[8:9]
	global_load_b32 v13, v27, s[8:9]
	;; [unrolled: 1-line block ×5, first 2 shown]
	v_and_b32_e32 v18, 0xffff, v23
	v_and_b32_e32 v23, 0xffff, v24
	ds_load_b32 v24, v17
	ds_load_b32 v29, v4 offset:792
	ds_load_2addr_b32 v[7:8], v4 offset0:154 offset1:176
	ds_load_2addr_b32 v[10:11], v4 offset0:110 offset1:132
	v_and_b32_e32 v20, 0xffff, v20
	v_and_b32_e32 v21, 0xffff, v21
	v_mad_u32_u24 v18, 0x50, v18, 0
	v_mad_u32_u24 v23, 0x50, v23, 0
	;; [unrolled: 1-line block ×5, first 2 shown]
	v_add3_u32 v22, v18, v22, v9
	v_add3_u32 v23, v23, v25, v9
	;; [unrolled: 1-line block ×5, first 2 shown]
	ds_load_2addr_b32 v[18:19], v4 offset0:22 offset1:44
	ds_load_2addr_b32 v[20:21], v4 offset0:66 offset1:88
	global_wb scope:SCOPE_SE
	s_wait_loadcnt_dscnt 0x0
	s_barrier_signal -1
	s_barrier_wait -1
	global_inv scope:SCOPE_SE
                                        ; implicit-def: $vgpr38
	v_pk_mul_f16 v9, v12, v29 op_sel:[0,1]
	v_pk_mul_f16 v16, v13, v8 op_sel:[0,1]
	;; [unrolled: 1-line block ×5, first 2 shown]
	v_pk_fma_f16 v33, v12, v29, v9 op_sel:[0,0,1] op_sel_hi:[1,1,0]
	v_pk_fma_f16 v9, v12, v29, v9 op_sel:[0,0,1] op_sel_hi:[1,0,0] neg_lo:[1,0,0] neg_hi:[1,0,0]
	v_pk_fma_f16 v12, v13, v8, v16 op_sel:[0,0,1] op_sel_hi:[1,1,0]
	v_pk_fma_f16 v8, v13, v8, v16 op_sel:[0,0,1] op_sel_hi:[1,0,0] neg_lo:[1,0,0] neg_hi:[1,0,0]
	;; [unrolled: 2-line block ×5, first 2 shown]
	v_bfi_b32 v9, 0xffff, v33, v9
	v_bfi_b32 v8, 0xffff, v12, v8
	;; [unrolled: 1-line block ×5, first 2 shown]
	v_pk_add_f16 v13, v21, v9 neg_lo:[0,1] neg_hi:[0,1]
	v_pk_add_f16 v7, v20, v8 neg_lo:[0,1] neg_hi:[0,1]
	v_pk_add_f16 v9, v19, v12 neg_lo:[0,1] neg_hi:[0,1]
	v_pk_add_f16 v11, v18, v11 neg_lo:[0,1] neg_hi:[0,1]
	v_pk_add_f16 v15, v24, v10 neg_lo:[0,1] neg_hi:[0,1]
	v_pk_fma_f16 v8, v21, 2.0, v13 op_sel_hi:[1,0,1] neg_lo:[0,0,1] neg_hi:[0,0,1]
	v_pk_fma_f16 v10, v20, 2.0, v7 op_sel_hi:[1,0,1] neg_lo:[0,0,1] neg_hi:[0,0,1]
	;; [unrolled: 1-line block ×5, first 2 shown]
	v_lshrrev_b32_e32 v29, 16, v13
	v_lshrrev_b32_e32 v33, 16, v7
	;; [unrolled: 1-line block ×10, first 2 shown]
	ds_store_2addr_b32 v22, v18, v15 offset1:10
	ds_store_2addr_b32 v23, v16, v11 offset1:10
	;; [unrolled: 1-line block ×5, first 2 shown]
	global_wb scope:SCOPE_SE
	s_wait_dscnt 0x0
	s_barrier_signal -1
	s_barrier_wait -1
	global_inv scope:SCOPE_SE
	s_and_saveexec_b32 s1, s0
	s_cbranch_execz .LBB0_20
; %bb.19:
	ds_load_b32 v18, v17
	ds_load_2addr_b32 v[7:8], v4 offset0:140 offset1:160
	ds_load_2addr_b32 v[13:14], v4 offset0:180 offset1:200
	;; [unrolled: 1-line block ×5, first 2 shown]
	s_wait_dscnt 0x5
	v_lshrrev_b32_e32 v19, 16, v18
	s_wait_dscnt 0x4
	v_lshrrev_b32_e32 v30, 16, v8
	;; [unrolled: 2-line block ×3, first 2 shown]
	v_lshrrev_b32_e32 v38, 16, v14
	s_wait_dscnt 0x2
	v_lshrrev_b32_e32 v37, 16, v15
	v_lshrrev_b32_e32 v36, 16, v16
	s_wait_dscnt 0x1
	v_lshrrev_b32_e32 v32, 16, v11
	;; [unrolled: 3-line block ×3, first 2 shown]
	v_lshrrev_b32_e32 v35, 16, v10
	v_lshrrev_b32_e32 v33, 16, v7
.LBB0_20:
	s_wait_alu 0xfffe
	s_or_b32 exec_lo, exec_lo, s1
	global_wb scope:SCOPE_SE
	s_barrier_signal -1
	s_barrier_wait -1
	global_inv scope:SCOPE_SE
	s_and_saveexec_b32 s1, s0
	s_cbranch_execz .LBB0_22
; %bb.21:
	v_subrev_nc_u32_e32 v20, 20, v3
	v_mov_b32_e32 v21, 0
	s_delay_alu instid0(VALU_DEP_2) | instskip(NEXT) | instid1(VALU_DEP_1)
	v_cndmask_b32_e64 v20, v20, v3, s0
	v_mul_i32_i24_e32 v20, 10, v20
	s_delay_alu instid0(VALU_DEP_1) | instskip(NEXT) | instid1(VALU_DEP_1)
	v_lshlrev_b64_e32 v[20:21], 2, v[20:21]
	v_add_co_u32 v20, s0, s8, v20
	s_wait_alu 0xf1ff
	s_delay_alu instid0(VALU_DEP_2)
	v_add_co_ci_u32_e64 v21, s0, s9, v21, s0
	s_clause 0x2
	global_load_b128 v[39:42], v[20:21], off offset:40
	global_load_b128 v[43:46], v[20:21], off offset:56
	global_load_b64 v[47:48], v[20:21], off offset:72
	s_wait_loadcnt 0x2
	v_lshrrev_b32_e32 v21, 16, v39
	v_lshrrev_b32_e32 v22, 16, v40
	s_wait_loadcnt 0x0
	v_lshrrev_b32_e32 v25, 16, v48
	v_lshrrev_b32_e32 v23, 16, v41
	v_lshrrev_b32_e32 v24, 16, v42
	v_lshrrev_b32_e32 v49, 16, v43
	v_lshrrev_b32_e32 v50, 16, v44
	v_lshrrev_b32_e32 v26, 16, v46
	v_lshrrev_b32_e32 v27, 16, v47
	v_mul_f16_e32 v52, v37, v21
	v_mul_f16_e32 v20, v38, v25
	;; [unrolled: 1-line block ×4, first 2 shown]
	v_lshrrev_b32_e32 v51, 16, v45
	v_mul_f16_e32 v28, v36, v22
	v_mul_f16_e32 v21, v29, v27
	;; [unrolled: 1-line block ×12, first 2 shown]
	v_fmac_f16_e32 v52, v15, v39
	v_fmac_f16_e32 v20, v14, v48
	v_fma_f16 v14, v38, v48, -v53
	v_fma_f16 v48, v37, v39, -v54
	v_mul_f16_e32 v58, v11, v23
	v_mul_f16_e32 v23, v33, v51
	;; [unrolled: 1-line block ×4, first 2 shown]
	v_fmac_f16_e32 v28, v16, v40
	v_fmac_f16_e32 v21, v13, v47
	v_fma_f16 v13, v29, v47, -v55
	v_fma_f16 v39, v36, v40, -v56
	v_fmac_f16_e32 v27, v11, v41
	v_fmac_f16_e32 v26, v12, v42
	v_fma_f16 v11, v34, v42, -v59
	v_fmac_f16_e32 v25, v9, v43
	v_fmac_f16_e32 v24, v10, v44
	v_fma_f16 v10, v31, v43, -v49
	v_add_f16_e32 v42, v18, v52
	v_add_f16_e32 v43, v19, v48
	v_fmac_f16_e32 v22, v8, v46
	v_fma_f16 v8, v30, v46, -v57
	v_fma_f16 v15, v32, v41, -v58
	v_fmac_f16_e32 v23, v7, v45
	v_fma_f16 v7, v33, v45, -v51
	v_fma_f16 v9, v35, v44, -v50
	v_sub_f16_e32 v29, v28, v21
	v_add_f16_e32 v37, v39, v13
	v_add_f16_e32 v12, v28, v21
	v_sub_f16_e32 v41, v39, v13
	v_add_f16_e32 v28, v42, v28
	v_add_f16_e32 v39, v43, v39
	v_sub_f16_e32 v16, v52, v20
	v_add_f16_e32 v38, v48, v14
	v_sub_f16_e32 v30, v27, v22
	v_add_f16_e32 v36, v15, v8
	v_add_f16_e32 v35, v11, v7
	v_sub_f16_e32 v32, v25, v24
	v_add_f16_e32 v34, v10, v9
	v_sub_f16_e32 v40, v48, v14
	v_sub_f16_e32 v31, v26, v23
	;; [unrolled: 1-line block ×3, first 2 shown]
	v_add_f16_e32 v45, v27, v22
	v_add_f16_e32 v15, v39, v15
	;; [unrolled: 1-line block ×4, first 2 shown]
	v_mul_f16_e32 v50, 0xbb47, v16
	v_mul_f16_e32 v52, 0x3482, v30
	;; [unrolled: 1-line block ×22, first 2 shown]
	v_sub_f16_e32 v46, v11, v7
	v_sub_f16_e32 v48, v10, v9
	v_mul_f16_e32 v51, 0xba0c, v29
	v_mul_f16_e32 v53, 0x3beb, v31
	;; [unrolled: 1-line block ×8, first 2 shown]
	v_add_f16_e32 v47, v26, v23
	v_add_f16_e32 v26, v27, v26
	;; [unrolled: 1-line block ×3, first 2 shown]
	v_mul_f16_e32 v56, 0xba0c, v41
	v_mul_f16_e32 v63, 0x3482, v41
	;; [unrolled: 1-line block ×5, first 2 shown]
	v_fmamk_f16 v93, v38, 0x36a6, v50
	v_fmamk_f16 v95, v36, 0xbbad, v52
	;; [unrolled: 1-line block ×3, first 2 shown]
	v_fma_f16 v98, v33, 0x36a6, -v55
	v_fmamk_f16 v99, v38, 0xb08e, v57
	v_fmamk_f16 v101, v36, 0x36a6, v59
	;; [unrolled: 1-line block ×7, first 2 shown]
	v_fma_f16 v71, v38, 0xbbad, -v71
	v_fma_f16 v64, v38, 0xb93d, -v64
	;; [unrolled: 1-line block ×4, first 2 shown]
	v_fmamk_f16 v50, v36, 0xb93d, v73
	v_fma_f16 v73, v36, 0xb93d, -v73
	v_fma_f16 v66, v36, 0x3abb, -v66
	;; [unrolled: 1-line block ×4, first 2 shown]
	v_fmamk_f16 v52, v34, 0xb08e, v75
	v_fma_f16 v75, v34, 0xb08e, -v75
	v_fma_f16 v68, v34, 0x36a6, -v68
	;; [unrolled: 1-line block ×4, first 2 shown]
	v_fmac_f16_e32 v55, 0x36a6, v33
	v_fmamk_f16 v54, v16, 0x3853, v78
	v_fmac_f16_e32 v78, 0xb853, v16
	v_fmamk_f16 v16, v29, 0x3b47, v79
	;; [unrolled: 2-line block ×6, first 2 shown]
	v_add_f16_e32 v49, v25, v24
	v_mul_f16_e32 v42, 0xba0c, v44
	v_mul_f16_e32 v43, 0x3482, v44
	;; [unrolled: 1-line block ×15, first 2 shown]
	v_fmamk_f16 v94, v37, 0xb93d, v51
	v_fmamk_f16 v96, v35, 0xb08e, v53
	;; [unrolled: 1-line block ×4, first 2 shown]
	v_fma_f16 v104, v33, 0xb08e, -v62
	v_fmamk_f16 v106, v37, 0xb08e, v65
	v_fmamk_f16 v108, v35, 0xbbad, v67
	v_fma_f16 v110, v33, 0xb93d, -v69
	v_fmamk_f16 v113, v37, 0x3abb, v72
	v_fma_f16 v72, v37, 0x3abb, -v72
	v_fma_f16 v65, v37, 0xb08e, -v65
	v_fma_f16 v58, v37, 0xbbad, -v58
	v_fma_f16 v37, v37, 0xb93d, -v51
	v_fmamk_f16 v51, v35, 0x36a6, v74
	v_fma_f16 v74, v35, 0x36a6, -v74
	v_fma_f16 v67, v35, 0xbbad, -v67
	;; [unrolled: 1-line block ×5, first 2 shown]
	v_fmac_f16_e32 v76, 0xbbad, v33
	v_fmac_f16_e32 v69, 0xb93d, v33
	;; [unrolled: 1-line block ×3, first 2 shown]
	v_add_f16_e32 v25, v26, v25
	v_add_f16_e32 v10, v11, v10
	v_fma_f16 v33, v33, 0x3abb, -v40
	v_fma_f16 v115, v12, 0xb93d, -v56
	v_fmac_f16_e32 v56, 0xb93d, v12
	v_fmamk_f16 v116, v12, 0x36a6, v41
	v_add_f16_e32 v38, v19, v38
	v_add_f16_e32 v54, v19, v54
	;; [unrolled: 1-line block ×4, first 2 shown]
	v_fma_f16 v111, v12, 0xb08e, -v70
	v_fma_f16 v40, v12, 0x3abb, -v77
	v_fmac_f16_e32 v77, 0x3abb, v12
	v_fmac_f16_e32 v70, 0xb08e, v12
	v_fma_f16 v114, v12, 0xbbad, -v63
	v_fmac_f16_e32 v63, 0xbbad, v12
	v_fma_f16 v12, v12, 0x36a6, -v41
	v_fma_f16 v28, v45, 0xb93d, -v42
	v_fmac_f16_e32 v42, 0xb93d, v45
	v_fma_f16 v39, v45, 0x3abb, -v83
	v_fmac_f16_e32 v83, 0x3abb, v45
	v_fma_f16 v41, v45, 0x36a6, -v84
	v_fmac_f16_e32 v84, 0x36a6, v45
	v_fma_f16 v117, v45, 0xbbad, -v43
	v_fmac_f16_e32 v43, 0xbbad, v45
	v_fmamk_f16 v118, v45, 0xb08e, v44
	v_fma_f16 v44, v45, 0xb08e, -v44
	v_fma_f16 v45, v47, 0x36a6, -v88
	v_fmac_f16_e32 v88, 0x36a6, v47
	v_fma_f16 v119, v47, 0xbbad, -v87
	v_fmac_f16_e32 v87, 0xbbad, v47
	v_fma_f16 v120, v47, 0x3abb, -v86
	v_fmac_f16_e32 v86, 0x3abb, v47
	v_fma_f16 v121, v47, 0xb08e, -v85
	v_fmac_f16_e32 v85, 0xb08e, v47
	v_fmamk_f16 v122, v47, 0xb93d, v46
	;; [unrolled: 10-line block ×3, first 2 shown]
	v_fma_f16 v48, v49, 0xbbad, -v48
	v_add_f16_e32 v15, v19, v93
	v_add_f16_e32 v27, v19, v99
	;; [unrolled: 1-line block ×106, first 2 shown]
	v_pack_b32_f16 v8, v8, v16
	v_pack_b32_f16 v13, v35, v34
	;; [unrolled: 1-line block ×11, first 2 shown]
	ds_store_2addr_b32 v4, v8, v13 offset0:20 offset1:40
	ds_store_2addr_b32 v4, v16, v22 offset0:60 offset1:80
	;; [unrolled: 1-line block ×4, first 2 shown]
	ds_store_b32 v17, v7
	ds_store_2addr_b32 v4, v11, v9 offset0:180 offset1:200
.LBB0_22:
	s_wait_alu 0xfffe
	s_or_b32 exec_lo, exec_lo, s1
	global_wb scope:SCOPE_SE
	s_wait_dscnt 0x0
	s_barrier_signal -1
	s_barrier_wait -1
	global_inv scope:SCOPE_SE
	s_and_saveexec_b32 s0, vcc_lo
	s_cbranch_execz .LBB0_24
; %bb.23:
	v_mul_lo_u32 v7, s3, v5
	v_mul_lo_u32 v8, s2, v6
	v_mad_co_u64_u32 v[5:6], null, s2, v5, 0
	v_mov_b32_e32 v4, 0
	v_lshl_add_u32 v29, v3, 2, v0
	v_lshlrev_b64_e32 v[0:1], 2, v[1:2]
	v_add_nc_u32_e32 v21, 0x84, v3
	v_add_nc_u32_e32 v23, 0x9a, v3
	;; [unrolled: 1-line block ×3, first 2 shown]
	v_add3_u32 v6, v6, v8, v7
	v_add_nc_u32_e32 v7, 22, v3
	v_dual_mov_b32 v8, v4 :: v_dual_add_nc_u32 v9, 44, v3
	v_lshlrev_b64_e32 v[15:16], 2, v[3:4]
	s_delay_alu instid0(VALU_DEP_4)
	v_lshlrev_b64_e32 v[5:6], 2, v[5:6]
	v_dual_mov_b32 v10, v4 :: v_dual_add_nc_u32 v11, 0x42, v3
	v_mov_b32_e32 v12, v4
	v_mov_b32_e32 v20, v4
	;; [unrolled: 1-line block ×3, first 2 shown]
	v_add_co_u32 v2, vcc_lo, s6, v5
	s_wait_alu 0xfffd
	v_add_co_ci_u32_e32 v5, vcc_lo, s7, v6, vcc_lo
	ds_load_2addr_b32 v[13:14], v29 offset1:22
	v_add_co_u32 v31, vcc_lo, v2, v0
	s_wait_alu 0xfffd
	v_add_co_ci_u32_e32 v32, vcc_lo, v5, v1, vcc_lo
	v_lshlrev_b64_e32 v[0:1], 2, v[7:8]
	s_delay_alu instid0(VALU_DEP_3)
	v_add_co_u32 v5, vcc_lo, v31, v15
	v_lshlrev_b64_e32 v[7:8], 2, v[9:10]
	s_wait_alu 0xfffd
	v_add_co_ci_u32_e32 v6, vcc_lo, v32, v16, vcc_lo
	v_dual_mov_b32 v16, v4 :: v_dual_add_nc_u32 v15, 0x58, v3
	v_add_nc_u32_e32 v19, 0x6e, v3
	v_add_co_u32 v0, vcc_lo, v31, v0
	v_lshlrev_b64_e32 v[11:12], 2, v[11:12]
	s_wait_alu 0xfffd
	v_add_co_ci_u32_e32 v1, vcc_lo, v32, v1, vcc_lo
	v_add_co_u32 v7, vcc_lo, v31, v7
	v_lshlrev_b64_e32 v[15:16], 2, v[15:16]
	s_wait_alu 0xfffd
	v_add_co_ci_u32_e32 v8, vcc_lo, v32, v8, vcc_lo
	v_add_co_u32 v11, vcc_lo, v31, v11
	v_lshlrev_b64_e32 v[19:20], 2, v[19:20]
	v_mov_b32_e32 v24, v4
	ds_load_2addr_b32 v[9:10], v29 offset0:44 offset1:66
	s_wait_alu 0xfffd
	v_add_co_ci_u32_e32 v12, vcc_lo, v32, v12, vcc_lo
	v_add_co_u32 v15, vcc_lo, v31, v15
	v_lshlrev_b64_e32 v[21:22], 2, v[21:22]
	ds_load_2addr_b32 v[17:18], v29 offset0:88 offset1:110
	v_dual_mov_b32 v28, v4 :: v_dual_add_nc_u32 v3, 0xc6, v3
	s_wait_alu 0xfffd
	v_add_co_ci_u32_e32 v16, vcc_lo, v32, v16, vcc_lo
	v_add_co_u32 v19, vcc_lo, v31, v19
	ds_load_2addr_b32 v[25:26], v29 offset0:132 offset1:154
	v_lshlrev_b64_e32 v[23:24], 2, v[23:24]
	s_wait_alu 0xfffd
	v_add_co_ci_u32_e32 v20, vcc_lo, v32, v20, vcc_lo
	ds_load_2addr_b32 v[29:30], v29 offset0:176 offset1:198
	v_add_co_u32 v21, vcc_lo, v31, v21
	v_lshlrev_b64_e32 v[27:28], 2, v[27:28]
	s_wait_alu 0xfffd
	v_add_co_ci_u32_e32 v22, vcc_lo, v32, v22, vcc_lo
	v_add_co_u32 v23, vcc_lo, v31, v23
	v_lshlrev_b64_e32 v[2:3], 2, v[3:4]
	s_wait_alu 0xfffd
	v_add_co_ci_u32_e32 v24, vcc_lo, v32, v24, vcc_lo
	v_add_co_u32 v27, vcc_lo, v31, v27
	s_wait_alu 0xfffd
	v_add_co_ci_u32_e32 v28, vcc_lo, v32, v28, vcc_lo
	v_add_co_u32 v2, vcc_lo, v31, v2
	s_wait_alu 0xfffd
	v_add_co_ci_u32_e32 v3, vcc_lo, v32, v3, vcc_lo
	s_wait_dscnt 0x4
	s_clause 0x1
	global_store_b32 v[5:6], v13, off
	global_store_b32 v[0:1], v14, off
	s_wait_dscnt 0x3
	s_clause 0x1
	global_store_b32 v[7:8], v9, off
	global_store_b32 v[11:12], v10, off
	;; [unrolled: 4-line block ×5, first 2 shown]
.LBB0_24:
	s_nop 0
	s_sendmsg sendmsg(MSG_DEALLOC_VGPRS)
	s_endpgm
	.section	.rodata,"a",@progbits
	.p2align	6, 0x0
	.amdhsa_kernel fft_rtc_back_len220_factors_10_2_11_wgs_110_tpt_22_half_op_CI_CI_unitstride_sbrr_C2R_dirReg
		.amdhsa_group_segment_fixed_size 0
		.amdhsa_private_segment_fixed_size 0
		.amdhsa_kernarg_size 104
		.amdhsa_user_sgpr_count 2
		.amdhsa_user_sgpr_dispatch_ptr 0
		.amdhsa_user_sgpr_queue_ptr 0
		.amdhsa_user_sgpr_kernarg_segment_ptr 1
		.amdhsa_user_sgpr_dispatch_id 0
		.amdhsa_user_sgpr_private_segment_size 0
		.amdhsa_wavefront_size32 1
		.amdhsa_uses_dynamic_stack 0
		.amdhsa_enable_private_segment 0
		.amdhsa_system_sgpr_workgroup_id_x 1
		.amdhsa_system_sgpr_workgroup_id_y 0
		.amdhsa_system_sgpr_workgroup_id_z 0
		.amdhsa_system_sgpr_workgroup_info 0
		.amdhsa_system_vgpr_workitem_id 0
		.amdhsa_next_free_vgpr 127
		.amdhsa_next_free_sgpr 39
		.amdhsa_reserve_vcc 1
		.amdhsa_float_round_mode_32 0
		.amdhsa_float_round_mode_16_64 0
		.amdhsa_float_denorm_mode_32 3
		.amdhsa_float_denorm_mode_16_64 3
		.amdhsa_fp16_overflow 0
		.amdhsa_workgroup_processor_mode 1
		.amdhsa_memory_ordered 1
		.amdhsa_forward_progress 0
		.amdhsa_round_robin_scheduling 0
		.amdhsa_exception_fp_ieee_invalid_op 0
		.amdhsa_exception_fp_denorm_src 0
		.amdhsa_exception_fp_ieee_div_zero 0
		.amdhsa_exception_fp_ieee_overflow 0
		.amdhsa_exception_fp_ieee_underflow 0
		.amdhsa_exception_fp_ieee_inexact 0
		.amdhsa_exception_int_div_zero 0
	.end_amdhsa_kernel
	.text
.Lfunc_end0:
	.size	fft_rtc_back_len220_factors_10_2_11_wgs_110_tpt_22_half_op_CI_CI_unitstride_sbrr_C2R_dirReg, .Lfunc_end0-fft_rtc_back_len220_factors_10_2_11_wgs_110_tpt_22_half_op_CI_CI_unitstride_sbrr_C2R_dirReg
                                        ; -- End function
	.section	.AMDGPU.csdata,"",@progbits
; Kernel info:
; codeLenInByte = 8320
; NumSgprs: 41
; NumVgprs: 127
; ScratchSize: 0
; MemoryBound: 0
; FloatMode: 240
; IeeeMode: 1
; LDSByteSize: 0 bytes/workgroup (compile time only)
; SGPRBlocks: 5
; VGPRBlocks: 15
; NumSGPRsForWavesPerEU: 41
; NumVGPRsForWavesPerEU: 127
; Occupancy: 10
; WaveLimiterHint : 1
; COMPUTE_PGM_RSRC2:SCRATCH_EN: 0
; COMPUTE_PGM_RSRC2:USER_SGPR: 2
; COMPUTE_PGM_RSRC2:TRAP_HANDLER: 0
; COMPUTE_PGM_RSRC2:TGID_X_EN: 1
; COMPUTE_PGM_RSRC2:TGID_Y_EN: 0
; COMPUTE_PGM_RSRC2:TGID_Z_EN: 0
; COMPUTE_PGM_RSRC2:TIDIG_COMP_CNT: 0
	.text
	.p2alignl 7, 3214868480
	.fill 96, 4, 3214868480
	.type	__hip_cuid_c15411dd132f2ebb,@object ; @__hip_cuid_c15411dd132f2ebb
	.section	.bss,"aw",@nobits
	.globl	__hip_cuid_c15411dd132f2ebb
__hip_cuid_c15411dd132f2ebb:
	.byte	0                               ; 0x0
	.size	__hip_cuid_c15411dd132f2ebb, 1

	.ident	"AMD clang version 19.0.0git (https://github.com/RadeonOpenCompute/llvm-project roc-6.4.0 25133 c7fe45cf4b819c5991fe208aaa96edf142730f1d)"
	.section	".note.GNU-stack","",@progbits
	.addrsig
	.addrsig_sym __hip_cuid_c15411dd132f2ebb
	.amdgpu_metadata
---
amdhsa.kernels:
  - .args:
      - .actual_access:  read_only
        .address_space:  global
        .offset:         0
        .size:           8
        .value_kind:     global_buffer
      - .offset:         8
        .size:           8
        .value_kind:     by_value
      - .actual_access:  read_only
        .address_space:  global
        .offset:         16
        .size:           8
        .value_kind:     global_buffer
      - .actual_access:  read_only
        .address_space:  global
        .offset:         24
        .size:           8
        .value_kind:     global_buffer
      - .actual_access:  read_only
        .address_space:  global
        .offset:         32
        .size:           8
        .value_kind:     global_buffer
      - .offset:         40
        .size:           8
        .value_kind:     by_value
      - .actual_access:  read_only
        .address_space:  global
        .offset:         48
        .size:           8
        .value_kind:     global_buffer
      - .actual_access:  read_only
        .address_space:  global
        .offset:         56
        .size:           8
        .value_kind:     global_buffer
      - .offset:         64
        .size:           4
        .value_kind:     by_value
      - .actual_access:  read_only
        .address_space:  global
        .offset:         72
        .size:           8
        .value_kind:     global_buffer
      - .actual_access:  read_only
        .address_space:  global
        .offset:         80
        .size:           8
        .value_kind:     global_buffer
      - .actual_access:  read_only
        .address_space:  global
        .offset:         88
        .size:           8
        .value_kind:     global_buffer
      - .actual_access:  write_only
        .address_space:  global
        .offset:         96
        .size:           8
        .value_kind:     global_buffer
    .group_segment_fixed_size: 0
    .kernarg_segment_align: 8
    .kernarg_segment_size: 104
    .language:       OpenCL C
    .language_version:
      - 2
      - 0
    .max_flat_workgroup_size: 110
    .name:           fft_rtc_back_len220_factors_10_2_11_wgs_110_tpt_22_half_op_CI_CI_unitstride_sbrr_C2R_dirReg
    .private_segment_fixed_size: 0
    .sgpr_count:     41
    .sgpr_spill_count: 0
    .symbol:         fft_rtc_back_len220_factors_10_2_11_wgs_110_tpt_22_half_op_CI_CI_unitstride_sbrr_C2R_dirReg.kd
    .uniform_work_group_size: 1
    .uses_dynamic_stack: false
    .vgpr_count:     127
    .vgpr_spill_count: 0
    .wavefront_size: 32
    .workgroup_processor_mode: 1
amdhsa.target:   amdgcn-amd-amdhsa--gfx1201
amdhsa.version:
  - 1
  - 2
...

	.end_amdgpu_metadata
